;; amdgpu-corpus repo=ROCm/rocFFT kind=compiled arch=gfx1030 opt=O3
	.text
	.amdgcn_target "amdgcn-amd-amdhsa--gfx1030"
	.amdhsa_code_object_version 6
	.protected	fft_rtc_fwd_len768_factors_16_3_16_wgs_48_tpt_48_halfLds_sp_op_CI_CI_unitstride_sbrr_R2C_dirReg ; -- Begin function fft_rtc_fwd_len768_factors_16_3_16_wgs_48_tpt_48_halfLds_sp_op_CI_CI_unitstride_sbrr_R2C_dirReg
	.globl	fft_rtc_fwd_len768_factors_16_3_16_wgs_48_tpt_48_halfLds_sp_op_CI_CI_unitstride_sbrr_R2C_dirReg
	.p2align	8
	.type	fft_rtc_fwd_len768_factors_16_3_16_wgs_48_tpt_48_halfLds_sp_op_CI_CI_unitstride_sbrr_R2C_dirReg,@function
fft_rtc_fwd_len768_factors_16_3_16_wgs_48_tpt_48_halfLds_sp_op_CI_CI_unitstride_sbrr_R2C_dirReg: ; @fft_rtc_fwd_len768_factors_16_3_16_wgs_48_tpt_48_halfLds_sp_op_CI_CI_unitstride_sbrr_R2C_dirReg
; %bb.0:
	s_clause 0x2
	s_load_dwordx4 s[12:15], s[4:5], 0x0
	s_load_dwordx4 s[8:11], s[4:5], 0x58
	;; [unrolled: 1-line block ×3, first 2 shown]
	v_mul_u32_u24_e32 v1, 0x556, v0
	v_mov_b32_e32 v3, 0
	v_add_nc_u32_sdwa v5, s6, v1 dst_sel:DWORD dst_unused:UNUSED_PAD src0_sel:DWORD src1_sel:WORD_1
	v_mov_b32_e32 v1, 0
	v_mov_b32_e32 v6, v3
	v_mov_b32_e32 v2, 0
	s_waitcnt lgkmcnt(0)
	v_cmp_lt_u64_e64 s0, s[14:15], 2
	s_and_b32 vcc_lo, exec_lo, s0
	s_cbranch_vccnz .LBB0_8
; %bb.1:
	s_load_dwordx2 s[0:1], s[4:5], 0x10
	v_mov_b32_e32 v1, 0
	v_mov_b32_e32 v2, 0
	s_add_u32 s2, s18, 8
	s_addc_u32 s3, s19, 0
	s_add_u32 s6, s16, 8
	s_addc_u32 s7, s17, 0
	v_mov_b32_e32 v25, v2
	v_mov_b32_e32 v24, v1
	s_mov_b64 s[22:23], 1
	s_waitcnt lgkmcnt(0)
	s_add_u32 s20, s0, 8
	s_addc_u32 s21, s1, 0
.LBB0_2:                                ; =>This Inner Loop Header: Depth=1
	s_load_dwordx2 s[24:25], s[20:21], 0x0
                                        ; implicit-def: $vgpr28_vgpr29
	s_mov_b32 s0, exec_lo
	s_waitcnt lgkmcnt(0)
	v_or_b32_e32 v4, s25, v6
	v_cmpx_ne_u64_e32 0, v[3:4]
	s_xor_b32 s1, exec_lo, s0
	s_cbranch_execz .LBB0_4
; %bb.3:                                ;   in Loop: Header=BB0_2 Depth=1
	v_cvt_f32_u32_e32 v4, s24
	v_cvt_f32_u32_e32 v7, s25
	s_sub_u32 s0, 0, s24
	s_subb_u32 s26, 0, s25
	v_fmac_f32_e32 v4, 0x4f800000, v7
	v_rcp_f32_e32 v4, v4
	v_mul_f32_e32 v4, 0x5f7ffffc, v4
	v_mul_f32_e32 v7, 0x2f800000, v4
	v_trunc_f32_e32 v7, v7
	v_fmac_f32_e32 v4, 0xcf800000, v7
	v_cvt_u32_f32_e32 v7, v7
	v_cvt_u32_f32_e32 v4, v4
	v_mul_lo_u32 v8, s0, v7
	v_mul_hi_u32 v9, s0, v4
	v_mul_lo_u32 v10, s26, v4
	v_add_nc_u32_e32 v8, v9, v8
	v_mul_lo_u32 v9, s0, v4
	v_add_nc_u32_e32 v8, v8, v10
	v_mul_hi_u32 v10, v4, v9
	v_mul_lo_u32 v11, v4, v8
	v_mul_hi_u32 v12, v4, v8
	v_mul_hi_u32 v13, v7, v9
	v_mul_lo_u32 v9, v7, v9
	v_mul_hi_u32 v14, v7, v8
	v_mul_lo_u32 v8, v7, v8
	v_add_co_u32 v10, vcc_lo, v10, v11
	v_add_co_ci_u32_e32 v11, vcc_lo, 0, v12, vcc_lo
	v_add_co_u32 v9, vcc_lo, v10, v9
	v_add_co_ci_u32_e32 v9, vcc_lo, v11, v13, vcc_lo
	v_add_co_ci_u32_e32 v10, vcc_lo, 0, v14, vcc_lo
	v_add_co_u32 v8, vcc_lo, v9, v8
	v_add_co_ci_u32_e32 v9, vcc_lo, 0, v10, vcc_lo
	v_add_co_u32 v4, vcc_lo, v4, v8
	v_add_co_ci_u32_e32 v7, vcc_lo, v7, v9, vcc_lo
	v_mul_hi_u32 v8, s0, v4
	v_mul_lo_u32 v10, s26, v4
	v_mul_lo_u32 v9, s0, v7
	v_add_nc_u32_e32 v8, v8, v9
	v_mul_lo_u32 v9, s0, v4
	v_add_nc_u32_e32 v8, v8, v10
	v_mul_hi_u32 v10, v4, v9
	v_mul_lo_u32 v11, v4, v8
	v_mul_hi_u32 v12, v4, v8
	v_mul_hi_u32 v13, v7, v9
	v_mul_lo_u32 v9, v7, v9
	v_mul_hi_u32 v14, v7, v8
	v_mul_lo_u32 v8, v7, v8
	v_add_co_u32 v10, vcc_lo, v10, v11
	v_add_co_ci_u32_e32 v11, vcc_lo, 0, v12, vcc_lo
	v_add_co_u32 v9, vcc_lo, v10, v9
	v_add_co_ci_u32_e32 v9, vcc_lo, v11, v13, vcc_lo
	v_add_co_ci_u32_e32 v10, vcc_lo, 0, v14, vcc_lo
	v_add_co_u32 v8, vcc_lo, v9, v8
	v_add_co_ci_u32_e32 v9, vcc_lo, 0, v10, vcc_lo
	v_add_co_u32 v4, vcc_lo, v4, v8
	v_add_co_ci_u32_e32 v11, vcc_lo, v7, v9, vcc_lo
	v_mul_hi_u32 v13, v5, v4
	v_mad_u64_u32 v[9:10], null, v6, v4, 0
	v_mad_u64_u32 v[7:8], null, v5, v11, 0
	;; [unrolled: 1-line block ×3, first 2 shown]
	v_add_co_u32 v4, vcc_lo, v13, v7
	v_add_co_ci_u32_e32 v7, vcc_lo, 0, v8, vcc_lo
	v_add_co_u32 v4, vcc_lo, v4, v9
	v_add_co_ci_u32_e32 v4, vcc_lo, v7, v10, vcc_lo
	v_add_co_ci_u32_e32 v7, vcc_lo, 0, v12, vcc_lo
	v_add_co_u32 v4, vcc_lo, v4, v11
	v_add_co_ci_u32_e32 v9, vcc_lo, 0, v7, vcc_lo
	v_mul_lo_u32 v10, s25, v4
	v_mad_u64_u32 v[7:8], null, s24, v4, 0
	v_mul_lo_u32 v11, s24, v9
	v_sub_co_u32 v7, vcc_lo, v5, v7
	v_add3_u32 v8, v8, v11, v10
	v_sub_nc_u32_e32 v10, v6, v8
	v_subrev_co_ci_u32_e64 v10, s0, s25, v10, vcc_lo
	v_add_co_u32 v11, s0, v4, 2
	v_add_co_ci_u32_e64 v12, s0, 0, v9, s0
	v_sub_co_u32 v13, s0, v7, s24
	v_sub_co_ci_u32_e32 v8, vcc_lo, v6, v8, vcc_lo
	v_subrev_co_ci_u32_e64 v10, s0, 0, v10, s0
	v_cmp_le_u32_e32 vcc_lo, s24, v13
	v_cmp_eq_u32_e64 s0, s25, v8
	v_cndmask_b32_e64 v13, 0, -1, vcc_lo
	v_cmp_le_u32_e32 vcc_lo, s25, v10
	v_cndmask_b32_e64 v14, 0, -1, vcc_lo
	v_cmp_le_u32_e32 vcc_lo, s24, v7
	;; [unrolled: 2-line block ×3, first 2 shown]
	v_cndmask_b32_e64 v15, 0, -1, vcc_lo
	v_cmp_eq_u32_e32 vcc_lo, s25, v10
	v_cndmask_b32_e64 v7, v15, v7, s0
	v_cndmask_b32_e32 v10, v14, v13, vcc_lo
	v_add_co_u32 v13, vcc_lo, v4, 1
	v_add_co_ci_u32_e32 v14, vcc_lo, 0, v9, vcc_lo
	v_cmp_ne_u32_e32 vcc_lo, 0, v10
	v_cndmask_b32_e32 v8, v14, v12, vcc_lo
	v_cndmask_b32_e32 v10, v13, v11, vcc_lo
	v_cmp_ne_u32_e32 vcc_lo, 0, v7
	v_cndmask_b32_e32 v29, v9, v8, vcc_lo
	v_cndmask_b32_e32 v28, v4, v10, vcc_lo
.LBB0_4:                                ;   in Loop: Header=BB0_2 Depth=1
	s_andn2_saveexec_b32 s0, s1
	s_cbranch_execz .LBB0_6
; %bb.5:                                ;   in Loop: Header=BB0_2 Depth=1
	v_cvt_f32_u32_e32 v4, s24
	s_sub_i32 s1, 0, s24
	v_mov_b32_e32 v29, v3
	v_rcp_iflag_f32_e32 v4, v4
	v_mul_f32_e32 v4, 0x4f7ffffe, v4
	v_cvt_u32_f32_e32 v4, v4
	v_mul_lo_u32 v7, s1, v4
	v_mul_hi_u32 v7, v4, v7
	v_add_nc_u32_e32 v4, v4, v7
	v_mul_hi_u32 v4, v5, v4
	v_mul_lo_u32 v7, v4, s24
	v_add_nc_u32_e32 v8, 1, v4
	v_sub_nc_u32_e32 v7, v5, v7
	v_subrev_nc_u32_e32 v9, s24, v7
	v_cmp_le_u32_e32 vcc_lo, s24, v7
	v_cndmask_b32_e32 v7, v7, v9, vcc_lo
	v_cndmask_b32_e32 v4, v4, v8, vcc_lo
	v_cmp_le_u32_e32 vcc_lo, s24, v7
	v_add_nc_u32_e32 v8, 1, v4
	v_cndmask_b32_e32 v28, v4, v8, vcc_lo
.LBB0_6:                                ;   in Loop: Header=BB0_2 Depth=1
	s_or_b32 exec_lo, exec_lo, s0
	v_mul_lo_u32 v4, v29, s24
	v_mul_lo_u32 v9, v28, s25
	s_load_dwordx2 s[0:1], s[6:7], 0x0
	v_mad_u64_u32 v[7:8], null, v28, s24, 0
	s_load_dwordx2 s[24:25], s[2:3], 0x0
	s_add_u32 s22, s22, 1
	s_addc_u32 s23, s23, 0
	s_add_u32 s2, s2, 8
	s_addc_u32 s3, s3, 0
	s_add_u32 s6, s6, 8
	v_add3_u32 v4, v8, v9, v4
	v_sub_co_u32 v5, vcc_lo, v5, v7
	s_addc_u32 s7, s7, 0
	s_add_u32 s20, s20, 8
	v_sub_co_ci_u32_e32 v4, vcc_lo, v6, v4, vcc_lo
	s_addc_u32 s21, s21, 0
	s_waitcnt lgkmcnt(0)
	v_mul_lo_u32 v6, s0, v4
	v_mul_lo_u32 v7, s1, v5
	v_mad_u64_u32 v[1:2], null, s0, v5, v[1:2]
	v_mul_lo_u32 v4, s24, v4
	v_mul_lo_u32 v8, s25, v5
	v_mad_u64_u32 v[24:25], null, s24, v5, v[24:25]
	v_cmp_ge_u64_e64 s0, s[22:23], s[14:15]
	v_add3_u32 v2, v7, v2, v6
	v_add3_u32 v25, v8, v25, v4
	s_and_b32 vcc_lo, exec_lo, s0
	s_cbranch_vccnz .LBB0_9
; %bb.7:                                ;   in Loop: Header=BB0_2 Depth=1
	v_mov_b32_e32 v5, v28
	v_mov_b32_e32 v6, v29
	s_branch .LBB0_2
.LBB0_8:
	v_mov_b32_e32 v25, v2
	v_mov_b32_e32 v29, v6
	;; [unrolled: 1-line block ×4, first 2 shown]
.LBB0_9:
	s_load_dwordx2 s[0:1], s[4:5], 0x28
	v_mul_hi_u32 v3, 0x5555556, v0
	s_lshl_b64 s[4:5], s[14:15], 3
                                        ; implicit-def: $vgpr26
                                        ; implicit-def: $vgpr30
                                        ; implicit-def: $vgpr35
                                        ; implicit-def: $vgpr34
                                        ; implicit-def: $vgpr33
                                        ; implicit-def: $vgpr32
	s_add_u32 s2, s18, s4
	s_addc_u32 s3, s19, s5
	s_waitcnt lgkmcnt(0)
	v_cmp_gt_u64_e32 vcc_lo, s[0:1], v[28:29]
	v_cmp_le_u64_e64 s0, s[0:1], v[28:29]
	s_and_saveexec_b32 s1, s0
	s_xor_b32 s0, exec_lo, s1
; %bb.10:
	v_mul_u32_u24_e32 v1, 48, v3
                                        ; implicit-def: $vgpr3
	v_sub_nc_u32_e32 v26, v0, v1
                                        ; implicit-def: $vgpr0
                                        ; implicit-def: $vgpr1_vgpr2
	v_add_nc_u32_e32 v30, 48, v26
	v_add_nc_u32_e32 v35, 0x60, v26
	;; [unrolled: 1-line block ×3, first 2 shown]
	v_or_b32_e32 v33, 0xc0, v26
	v_add_nc_u32_e32 v32, 0xf0, v26
; %bb.11:
	s_andn2_saveexec_b32 s1, s0
	s_cbranch_execz .LBB0_13
; %bb.12:
	s_add_u32 s4, s16, s4
	s_addc_u32 s5, s17, s5
	v_mul_u32_u24_e32 v3, 48, v3
	s_load_dwordx2 s[4:5], s[4:5], 0x0
	v_sub_nc_u32_e32 v26, v0, v3
	v_lshlrev_b64 v[0:1], 3, v[1:2]
	v_lshlrev_b32_e32 v27, 3, v26
	v_add_nc_u32_e32 v30, 48, v26
	v_add_nc_u32_e32 v35, 0x60, v26
	;; [unrolled: 1-line block ×3, first 2 shown]
	v_or_b32_e32 v33, 0xc0, v26
	v_add_nc_u32_e32 v32, 0xf0, v26
	s_waitcnt lgkmcnt(0)
	v_mul_lo_u32 v6, s5, v28
	v_mul_lo_u32 v7, s4, v29
	v_mad_u64_u32 v[4:5], null, s4, v28, 0
	v_add3_u32 v5, v5, v7, v6
	v_or_b32_e32 v7, 0x1200, v27
	v_lshlrev_b64 v[3:4], 3, v[4:5]
	v_add_co_u32 v2, s0, s8, v3
	v_add_co_ci_u32_e64 v3, s0, s9, v4, s0
	v_or_b32_e32 v4, 0xc00, v27
	v_add_co_u32 v5, s0, v2, v0
	v_add_co_ci_u32_e64 v6, s0, v3, v1, s0
	v_add_co_u32 v0, s0, v5, v27
	v_add_co_ci_u32_e64 v1, s0, 0, v6, s0
	;; [unrolled: 2-line block ×6, first 2 shown]
	s_clause 0xf
	global_load_dwordx2 v[6:7], v[0:1], off
	global_load_dwordx2 v[8:9], v[0:1], off offset:384
	global_load_dwordx2 v[10:11], v[0:1], off offset:768
	;; [unrolled: 1-line block ×9, first 2 shown]
	global_load_dwordx2 v[2:3], v[2:3], off
	global_load_dwordx2 v[14:15], v[14:15], off offset:1792
	global_load_dwordx2 v[40:41], v[16:17], off offset:896
	;; [unrolled: 1-line block ×3, first 2 shown]
	global_load_dwordx2 v[4:5], v[4:5], off
	global_load_dwordx2 v[16:17], v[16:17], off offset:1664
	v_add_nc_u32_e32 v27, 0, v27
	v_add_nc_u32_e32 v31, 0x800, v27
	v_add_nc_u32_e32 v44, 0xc00, v27
	v_add_nc_u32_e32 v45, 0x1000, v27
	s_waitcnt vmcnt(14)
	ds_write2_b64 v27, v[6:7], v[8:9] offset1:48
	s_waitcnt vmcnt(12)
	ds_write2_b64 v27, v[10:11], v[12:13] offset0:96 offset1:144
	s_waitcnt vmcnt(10)
	ds_write2_b64 v27, v[18:19], v[0:1] offset0:192 offset1:240
	;; [unrolled: 2-line block ×7, first 2 shown]
.LBB0_13:
	s_or_b32 exec_lo, exec_lo, s1
	v_lshl_add_u32 v54, v26, 3, 0
	s_load_dwordx2 s[2:3], s[2:3], 0x0
	s_waitcnt lgkmcnt(0)
	s_barrier
	buffer_gl0_inv
	v_add_nc_u32_e32 v27, 0x800, v54
	v_add_nc_u32_e32 v31, 0x1000, v54
	;; [unrolled: 1-line block ×3, first 2 shown]
	ds_read2_b64 v[0:3], v54 offset1:48
	v_lshl_add_u32 v57, v34, 3, 0
	ds_read2_b64 v[4:7], v27 offset0:128 offset1:176
	ds_read2_b64 v[8:11], v54 offset0:192 offset1:240
	;; [unrolled: 1-line block ×7, first 2 shown]
	s_waitcnt lgkmcnt(0)
	s_barrier
	buffer_gl0_inv
	v_lshl_add_u32 v59, v30, 3, 0
	v_lshl_add_u32 v58, v35, 3, 0
	v_cmp_gt_u32_e64 s0, 16, v26
	v_sub_f32_e32 v12, v8, v12
	v_sub_f32_e32 v13, v9, v13
	;; [unrolled: 1-line block ×5, first 2 shown]
	v_fma_f32 v8, v8, 2.0, -v12
	v_sub_f32_e32 v41, v37, v41
	v_fma_f32 v0, v0, 2.0, -v4
	v_fma_f32 v16, v16, 2.0, -v20
	;; [unrolled: 1-line block ×3, first 2 shown]
	v_sub_f32_e32 v6, v2, v6
	v_sub_f32_e32 v15, v11, v15
	;; [unrolled: 1-line block ×12, first 2 shown]
	v_fma_f32 v9, v9, 2.0, -v13
	v_fma_f32 v37, v37, 2.0, -v41
	;; [unrolled: 1-line block ×5, first 2 shown]
	v_sub_f32_e32 v13, v4, v13
	v_fma_f32 v0, v0, 2.0, -v8
	v_sub_f32_e32 v41, v20, v41
	v_fma_f32 v16, v16, 2.0, -v36
	v_sub_f32_e32 v15, v6, v15
	v_sub_f32_e32 v43, v22, v43
	v_add_f32_e32 v42, v23, v42
	v_fma_f32 v1, v1, 2.0, -v5
	v_fma_f32 v2, v2, 2.0, -v6
	v_fma_f32 v3, v3, 2.0, -v7
	v_fma_f32 v17, v17, 2.0, -v21
	v_fma_f32 v10, v10, 2.0, -v14
	v_fma_f32 v18, v18, 2.0, -v22
	v_fma_f32 v19, v19, 2.0, -v23
	v_add_f32_e32 v12, v5, v12
	v_fma_f32 v4, v4, 2.0, -v13
	v_add_f32_e32 v40, v21, v40
	v_fma_f32 v20, v20, 2.0, -v41
	;; [unrolled: 2-line block ×3, first 2 shown]
	v_fma_f32 v22, v22, 2.0, -v43
	v_sub_f32_e32 v45, v0, v16
	v_fma_f32 v16, v23, 2.0, -v42
	v_fmamk_f32 v23, v41, 0x3f3504f3, v13
	v_sub_f32_e32 v9, v1, v9
	v_fma_f32 v5, v5, 2.0, -v12
	v_sub_f32_e32 v37, v17, v37
	v_sub_f32_e32 v10, v2, v10
	;; [unrolled: 1-line block ×3, first 2 shown]
	v_fma_f32 v21, v21, 2.0, -v40
	v_sub_f32_e32 v38, v18, v38
	v_sub_f32_e32 v39, v19, v39
	v_fma_f32 v7, v7, 2.0, -v14
	v_fmamk_f32 v44, v20, 0xbf3504f3, v4
	v_fmamk_f32 v50, v40, 0x3f3504f3, v12
	v_fmac_f32_e32 v23, 0xbf3504f3, v40
	v_fmamk_f32 v40, v22, 0xbf3504f3, v6
	v_fma_f32 v1, v1, 2.0, -v9
	v_fma_f32 v17, v17, 2.0, -v37
	;; [unrolled: 1-line block ×6, first 2 shown]
	v_fmamk_f32 v47, v21, 0xbf3504f3, v5
	v_fmac_f32_e32 v44, 0xbf3504f3, v21
	v_add_f32_e32 v49, v9, v36
	v_fmamk_f32 v51, v16, 0xbf3504f3, v7
	v_fmac_f32_e32 v40, 0xbf3504f3, v16
	v_sub_f32_e32 v46, v1, v17
	v_fmac_f32_e32 v47, 0x3f3504f3, v20
	v_fma_f32 v20, v4, 2.0, -v44
	v_sub_f32_e32 v48, v8, v37
	v_fma_f32 v37, v9, 2.0, -v49
	v_fmac_f32_e32 v50, 0x3f3504f3, v41
	v_sub_f32_e32 v18, v2, v18
	v_sub_f32_e32 v19, v3, v19
	v_fmac_f32_e32 v51, 0x3f3504f3, v22
	v_fma_f32 v9, v6, 2.0, -v40
	v_fmamk_f32 v52, v43, 0x3f3504f3, v15
	v_sub_f32_e32 v53, v10, v39
	v_add_f32_e32 v55, v11, v38
	v_fmamk_f32 v56, v42, 0x3f3504f3, v14
	v_fma_f32 v17, v1, 2.0, -v46
	v_fma_f32 v21, v5, 2.0, -v47
	;; [unrolled: 1-line block ×7, first 2 shown]
	v_fmac_f32_e32 v52, 0xbf3504f3, v42
	v_fma_f32 v10, v10, 2.0, -v53
	v_fma_f32 v12, v11, 2.0, -v55
	v_fmamk_f32 v3, v9, 0xbf6c835e, v20
	v_fmac_f32_e32 v56, 0x3f3504f3, v43
	v_fma_f32 v41, v13, 2.0, -v23
	v_fma_f32 v15, v15, 2.0, -v52
	v_fmamk_f32 v4, v7, 0xbf6c835e, v21
	v_fmac_f32_e32 v3, 0xbec3ef15, v7
	v_fmamk_f32 v7, v10, 0xbf3504f3, v36
	v_fmamk_f32 v8, v12, 0xbf3504f3, v37
	v_fma_f32 v13, v14, 2.0, -v56
	v_sub_f32_e32 v2, v17, v2
	v_fmac_f32_e32 v4, 0x3ec3ef15, v9
	v_fmamk_f32 v9, v15, 0xbec3ef15, v41
	v_fmac_f32_e32 v7, 0xbf3504f3, v12
	v_fmac_f32_e32 v8, 0x3f3504f3, v10
	v_fma_f32 v0, v0, 2.0, -v45
	v_fmamk_f32 v10, v13, 0xbec3ef15, v16
	v_fma_f32 v6, v17, 2.0, -v2
	v_fma_f32 v11, v20, 2.0, -v3
	v_sub_f32_e32 v17, v45, v19
	v_fmamk_f32 v19, v40, 0x3ec3ef15, v44
	v_fmamk_f32 v20, v51, 0x3ec3ef15, v47
	v_fmac_f32_e32 v9, 0xbf6c835e, v13
	v_fma_f32 v13, v36, 2.0, -v7
	v_fma_f32 v14, v37, 2.0, -v8
	v_fmamk_f32 v38, v53, 0x3f3504f3, v48
	v_fmamk_f32 v39, v55, 0x3f3504f3, v49
	;; [unrolled: 1-line block ×4, first 2 shown]
	v_sub_f32_e32 v1, v0, v1
	v_fmac_f32_e32 v10, 0x3f6c835e, v15
	v_add_f32_e32 v18, v46, v18
	v_fmac_f32_e32 v19, 0xbf6c835e, v51
	v_fmac_f32_e32 v20, 0x3f6c835e, v40
	;; [unrolled: 1-line block ×6, first 2 shown]
	v_fma_f32 v5, v0, 2.0, -v1
	v_fma_f32 v12, v21, 2.0, -v4
	v_mad_u32_u24 v0, 0x78, v26, v54
	v_fma_f32 v15, v41, 2.0, -v9
	v_fma_f32 v16, v16, 2.0, -v10
	;; [unrolled: 1-line block ×10, first 2 shown]
	v_lshl_add_u32 v56, v33, 3, 0
	ds_write2_b64 v0, v[5:6], v[11:12] offset1:1
	ds_write2_b64 v0, v[13:14], v[15:16] offset0:2 offset1:3
	ds_write2_b64 v0, v[21:22], v[40:41] offset0:4 offset1:5
	;; [unrolled: 1-line block ×7, first 2 shown]
	s_waitcnt lgkmcnt(0)
	s_barrier
	buffer_gl0_inv
	ds_read2st64_b64 v[4:7], v54 offset1:4
	ds_read2_b64 v[8:11], v31 offset1:48
	ds_read2_b64 v[16:19], v27 offset0:48 offset1:96
	ds_read2_b64 v[12:15], v31 offset0:96 offset1:144
	ds_read_b64 v[40:41], v57
	ds_read2_b64 v[20:23], v27 offset0:144 offset1:192
	ds_read_b64 v[38:39], v56
	ds_read_b64 v[42:43], v58
	;; [unrolled: 1-line block ×3, first 2 shown]
	ds_read_b64 v[52:53], v54 offset:5632
	v_lshl_add_u32 v55, v32, 3, 0
                                        ; implicit-def: $vgpr3
	s_and_saveexec_b32 s1, s0
	s_cbranch_execz .LBB0_15
; %bb.14:
	v_mad_i32_i24 v0, 0xffffff88, v26, v0
	v_add_nc_u32_e32 v0, 0x180, v0
	ds_read_b64 v[36:37], v55
	ds_read2st64_b64 v[0:3], v0 offset0:7 offset1:11
.LBB0_15:
	s_or_b32 exec_lo, exec_lo, s1
	v_lshlrev_b32_e32 v27, 4, v26
	v_and_b32_e32 v31, 15, v26
	v_lshrrev_b32_e32 v62, 4, v30
	v_lshrrev_b32_e32 v63, 4, v35
	;; [unrolled: 1-line block ×3, first 2 shown]
	v_and_b32_e32 v27, 0xf0, v27
	v_lshlrev_b32_e32 v60, 4, v31
	v_lshrrev_b32_e32 v65, 4, v33
	v_lshrrev_b32_e32 v61, 4, v26
	v_mul_lo_u32 v62, v62, 48
	s_clause 0x3
	global_load_dwordx2 v[46:47], v27, s[12:13]
	global_load_dwordx2 v[48:49], v27, s[12:13] offset:8
	global_load_dwordx2 v[50:51], v27, s[12:13] offset:4
	global_load_dword v60, v60, s[12:13]
	v_mul_lo_u32 v63, v63, 48
	v_mul_lo_u32 v64, v64, 48
	;; [unrolled: 1-line block ×3, first 2 shown]
	v_mul_u32_u24_e32 v61, 48, v61
	s_waitcnt vmcnt(0) lgkmcnt(0)
	v_or_b32_e32 v62, v62, v31
	s_barrier
	buffer_gl0_inv
	v_or_b32_e32 v61, v61, v31
	v_or_b32_e32 v63, v63, v31
	v_or_b32_e32 v64, v64, v31
	v_or_b32_e32 v31, v65, v31
	v_lshl_add_u32 v62, v62, 3, 0
	v_lshl_add_u32 v61, v61, 3, 0
	v_lshl_add_u32 v63, v63, 3, 0
	v_lshl_add_u32 v64, v64, 3, 0
	v_lshl_add_u32 v31, v31, 3, 0
	v_mul_f32_e32 v65, v47, v7
	v_mul_f32_e32 v66, v47, v6
	;; [unrolled: 1-line block ×20, first 2 shown]
	v_fma_f32 v8, v51, v8, -v67
	v_fmac_f32_e32 v68, v51, v9
	v_fma_f32 v6, v60, v6, -v65
	v_fmac_f32_e32 v66, v60, v7
	;; [unrolled: 2-line block ×10, first 2 shown]
	v_add_f32_e32 v15, v6, v8
	v_add_f32_e32 v19, v66, v68
	;; [unrolled: 1-line block ×7, first 2 shown]
	v_sub_f32_e32 v18, v66, v68
	v_add_f32_e32 v20, v5, v66
	v_sub_f32_e32 v21, v6, v8
	v_sub_f32_e32 v51, v72, v70
	v_add_f32_e32 v52, v45, v72
	v_sub_f32_e32 v66, v74, v79
	v_add_f32_e32 v67, v43, v74
	v_add_f32_e32 v72, v40, v16
	v_add_f32_e32 v73, v16, v13
	v_sub_f32_e32 v74, v76, v81
	v_add_f32_e32 v75, v41, v76
	v_add_f32_e32 v76, v76, v81
	v_sub_f32_e32 v77, v16, v13
	v_add_f32_e32 v16, v38, v17
	v_add_f32_e32 v78, v17, v14
	;; [unrolled: 3-line block ×3, first 2 shown]
	v_fma_f32 v4, -0.5, v15, v4
	v_fma_f32 v5, -0.5, v19, v5
	v_add_f32_e32 v22, v44, v10
	v_sub_f32_e32 v60, v10, v9
	v_fma_f32 v44, -0.5, v23, v44
	v_fmac_f32_e32 v45, -0.5, v53
	v_add_f32_e32 v10, v42, v11
	v_sub_f32_e32 v71, v11, v12
	v_fma_f32 v42, -0.5, v65, v42
	v_fmac_f32_e32 v43, -0.5, v69
	v_sub_f32_e32 v83, v17, v14
	v_add_f32_e32 v6, v7, v8
	v_add_f32_e32 v7, v20, v68
	v_fma_f32 v40, -0.5, v73, v40
	v_fmac_f32_e32 v41, -0.5, v76
	v_add_f32_e32 v14, v16, v14
	v_fma_f32 v38, -0.5, v78, v38
	v_fmac_f32_e32 v39, -0.5, v47
	v_fmamk_f32 v16, v18, 0x3f5db3d7, v4
	v_fmamk_f32 v17, v21, 0xbf5db3d7, v5
	v_fmac_f32_e32 v4, 0xbf5db3d7, v18
	v_fmac_f32_e32 v5, 0x3f5db3d7, v21
	v_add_f32_e32 v8, v22, v9
	v_add_f32_e32 v9, v52, v70
	v_fmamk_f32 v18, v51, 0x3f5db3d7, v44
	v_fmamk_f32 v19, v60, 0xbf5db3d7, v45
	v_fmac_f32_e32 v44, 0xbf5db3d7, v51
	v_fmac_f32_e32 v45, 0x3f5db3d7, v60
	v_add_f32_e32 v10, v10, v12
	v_add_f32_e32 v11, v67, v79
	v_fmamk_f32 v20, v66, 0x3f5db3d7, v42
	v_fmamk_f32 v21, v71, 0xbf5db3d7, v43
	v_add_f32_e32 v12, v72, v13
	v_add_f32_e32 v13, v75, v81
	;; [unrolled: 1-line block ×3, first 2 shown]
	v_fmac_f32_e32 v42, 0xbf5db3d7, v66
	v_fmac_f32_e32 v43, 0x3f5db3d7, v71
	v_fmamk_f32 v22, v74, 0x3f5db3d7, v40
	v_fmac_f32_e32 v40, 0xbf5db3d7, v74
	v_fmamk_f32 v23, v77, 0xbf5db3d7, v41
	;; [unrolled: 2-line block ×4, first 2 shown]
	v_fmac_f32_e32 v39, 0x3f5db3d7, v83
	ds_write2_b64 v61, v[6:7], v[16:17] offset1:16
	ds_write_b64 v61, v[4:5] offset:256
	ds_write2_b64 v62, v[8:9], v[18:19] offset1:16
	ds_write_b64 v62, v[44:45] offset:256
	;; [unrolled: 2-line block ×5, first 2 shown]
	s_and_saveexec_b32 s1, s0
	s_cbranch_execz .LBB0_17
; %bb.16:
	v_add_co_u32 v4, s0, s12, v27
	v_add_co_ci_u32_e64 v5, null, s13, 0, s0
	v_mul_f32_e32 v7, v1, v50
	v_add_co_u32 v4, s0, v4, 8
	v_add_co_ci_u32_e64 v5, s0, 0, v5, s0
	global_load_dword v4, v[4:5], off offset:4
	v_mul_f32_e32 v5, v0, v50
	v_fma_f32 v0, v0, v46, -v7
	v_add_nc_u32_e32 v7, 0x1000, v54
	v_fmac_f32_e32 v5, v1, v46
	v_add_f32_e32 v8, v36, v0
	s_waitcnt vmcnt(0)
	v_mul_f32_e32 v6, v2, v4
	v_mul_f32_e32 v4, v3, v4
	v_fmac_f32_e32 v6, v3, v48
	v_fma_f32 v2, v2, v48, -v4
	v_add_f32_e32 v3, v37, v5
	v_add_f32_e32 v1, v5, v6
	;; [unrolled: 1-line block ×3, first 2 shown]
	v_sub_f32_e32 v9, v0, v2
	v_sub_f32_e32 v10, v5, v6
	v_add_f32_e32 v3, v3, v6
	v_fma_f32 v1, -0.5, v1, v37
	v_fma_f32 v0, -0.5, v4, v36
	v_add_f32_e32 v2, v8, v2
	v_fmamk_f32 v5, v9, 0x3f5db3d7, v1
	v_fmac_f32_e32 v1, 0xbf5db3d7, v9
	v_fmamk_f32 v4, v10, 0xbf5db3d7, v0
	v_fmac_f32_e32 v0, 0x3f5db3d7, v10
	ds_write2_b64 v7, v[2:3], v[0:1] offset0:208 offset1:224
	ds_write_b64 v54, v[4:5] offset:6016
.LBB0_17:
	s_or_b32 exec_lo, exec_lo, s1
	v_mul_u32_u24_e32 v0, 15, v26
	s_waitcnt lgkmcnt(0)
	s_barrier
	buffer_gl0_inv
	v_add_nc_u32_e32 v1, 0x800, v54
	v_lshlrev_b32_e32 v0, 3, v0
	v_add_nc_u32_e32 v27, 0xc00, v54
	v_add_nc_u32_e32 v31, 0x400, v54
	s_add_u32 s1, s12, 0x1780
	s_addc_u32 s4, s13, 0
	s_clause 0x7
	global_load_dwordx4 v[2:5], v0, s[12:13] offset:256
	global_load_dwordx4 v[6:9], v0, s[12:13] offset:272
	;; [unrolled: 1-line block ×7, first 2 shown]
	global_load_dwordx2 v[22:23], v0, s[12:13] offset:368
	ds_read_b64 v[52:53], v59
	ds_read_b64 v[72:73], v58
	;; [unrolled: 1-line block ×5, first 2 shown]
	v_add_nc_u32_e32 v0, 0x1000, v54
	ds_read2_b64 v[44:47], v1 offset0:32 offset1:80
	ds_read_b64 v[80:81], v54
	ds_read2_b64 v[48:51], v1 offset0:128 offset1:176
	ds_read2_b64 v[60:63], v27 offset0:96 offset1:144
	;; [unrolled: 1-line block ×4, first 2 shown]
	s_waitcnt vmcnt(0) lgkmcnt(0)
	s_barrier
	buffer_gl0_inv
	s_mov_b32 s5, exec_lo
	v_mul_f32_e32 v27, v3, v53
	v_mul_f32_e32 v3, v3, v52
	;; [unrolled: 1-line block ×19, first 2 shown]
	v_fma_f32 v27, v2, v52, -v27
	v_fmac_f32_e32 v3, v2, v53
	v_mul_f32_e32 v2, v60, v21
	v_mul_f32_e32 v21, v63, v37
	v_fma_f32 v52, v4, v72, -v82
	v_fmac_f32_e32 v5, v4, v73
	v_mul_f32_e32 v4, v62, v37
	v_mul_f32_e32 v37, v65, v39
	;; [unrolled: 1-line block ×6, first 2 shown]
	v_fma_f32 v73, v6, v74, -v83
	v_fmac_f32_e32 v7, v6, v75
	v_mul_f32_e32 v6, v68, v43
	v_mul_f32_e32 v43, v71, v23
	v_fma_f32 v74, v8, v76, -v84
	v_fmac_f32_e32 v9, v8, v77
	v_mul_f32_e32 v8, v70, v23
	v_fma_f32 v23, v78, v10, -v85
	v_fmac_f32_e32 v11, v79, v10
	v_fma_f32 v10, v44, v12, -v86
	v_fmac_f32_e32 v13, v45, v12
	;; [unrolled: 2-line block ×11, first 2 shown]
	v_sub_f32_e32 v14, v80, v14
	v_sub_f32_e32 v17, v81, v17
	;; [unrolled: 1-line block ×16, first 2 shown]
	v_fma_f32 v40, v80, 2.0, -v14
	v_fma_f32 v41, v81, 2.0, -v17
	;; [unrolled: 1-line block ×16, first 2 shown]
	v_sub_f32_e32 v22, v14, v22
	v_add_f32_e32 v21, v17, v21
	v_sub_f32_e32 v6, v18, v6
	v_add_f32_e32 v37, v2, v37
	;; [unrolled: 2-line block ×4, first 2 shown]
	v_sub_f32_e32 v42, v40, v42
	v_sub_f32_e32 v9, v41, v9
	v_fma_f32 v14, v14, 2.0, -v22
	v_fma_f32 v17, v17, 2.0, -v21
	v_sub_f32_e32 v10, v43, v10
	v_sub_f32_e32 v13, v5, v13
	v_fma_f32 v18, v18, 2.0, -v6
	v_fma_f32 v2, v2, 2.0, -v37
	v_sub_f32_e32 v23, v27, v23
	v_sub_f32_e32 v11, v3, v11
	v_fma_f32 v16, v16, 2.0, -v39
	v_fma_f32 v19, v19, 2.0, -v36
	v_sub_f32_e32 v12, v44, v12
	v_sub_f32_e32 v15, v7, v15
	v_fma_f32 v20, v20, 2.0, -v8
	v_fma_f32 v4, v4, 2.0, -v38
	v_fmamk_f32 v45, v6, 0x3f3504f3, v22
	v_fmamk_f32 v46, v37, 0x3f3504f3, v21
	;; [unrolled: 1-line block ×4, first 2 shown]
	v_fma_f32 v40, v40, 2.0, -v42
	v_fma_f32 v41, v41, 2.0, -v9
	;; [unrolled: 1-line block ×8, first 2 shown]
	v_fmamk_f32 v44, v18, 0xbf3504f3, v14
	v_fmamk_f32 v50, v2, 0xbf3504f3, v17
	v_fmac_f32_e32 v45, 0xbf3504f3, v37
	v_fmamk_f32 v37, v20, 0xbf3504f3, v16
	v_fmamk_f32 v53, v4, 0xbf3504f3, v19
	v_sub_f32_e32 v51, v42, v13
	v_add_f32_e32 v52, v9, v10
	v_fmac_f32_e32 v46, 0x3f3504f3, v6
	v_sub_f32_e32 v15, v23, v15
	v_add_f32_e32 v60, v11, v12
	v_fmac_f32_e32 v47, 0xbf3504f3, v38
	v_fmac_f32_e32 v48, 0x3f3504f3, v8
	v_sub_f32_e32 v38, v40, v43
	v_sub_f32_e32 v43, v41, v5
	v_fmac_f32_e32 v44, 0xbf3504f3, v2
	v_fmac_f32_e32 v50, 0x3f3504f3, v18
	v_sub_f32_e32 v12, v27, v3
	v_sub_f32_e32 v10, v49, v7
	v_fmac_f32_e32 v37, 0xbf3504f3, v4
	v_fmac_f32_e32 v53, 0x3f3504f3, v20
	v_fma_f32 v42, v42, 2.0, -v51
	v_fma_f32 v61, v9, 2.0, -v52
	;; [unrolled: 1-line block ×8, first 2 shown]
	v_fmamk_f32 v3, v60, 0x3f3504f3, v52
	v_fma_f32 v23, v40, 2.0, -v38
	v_fma_f32 v39, v41, 2.0, -v43
	;; [unrolled: 1-line block ×8, first 2 shown]
	v_fmamk_f32 v6, v18, 0xbf3504f3, v42
	v_fmamk_f32 v7, v20, 0xbf3504f3, v61
	;; [unrolled: 1-line block ×5, first 2 shown]
	v_fmac_f32_e32 v3, 0x3f3504f3, v15
	v_sub_f32_e32 v15, v39, v17
	v_fmamk_f32 v16, v27, 0xbf6c835e, v64
	v_fmamk_f32 v17, v40, 0xbf6c835e, v65
	;; [unrolled: 1-line block ×3, first 2 shown]
	v_add_f32_e32 v11, v43, v12
	v_fmamk_f32 v12, v37, 0x3ec3ef15, v44
	v_fmamk_f32 v13, v53, 0x3ec3ef15, v50
	;; [unrolled: 1-line block ×3, first 2 shown]
	v_sub_f32_e32 v10, v38, v10
	v_fmac_f32_e32 v6, 0xbf3504f3, v20
	v_fmac_f32_e32 v7, 0x3f3504f3, v18
	v_fmac_f32_e32 v8, 0xbf6c835e, v22
	v_fmac_f32_e32 v9, 0x3f6c835e, v21
	v_sub_f32_e32 v14, v23, v14
	v_fmac_f32_e32 v16, 0xbec3ef15, v40
	v_fmac_f32_e32 v17, 0x3ec3ef15, v27
	v_fmac_f32_e32 v2, 0xbf3504f3, v60
	v_fmac_f32_e32 v4, 0xbec3ef15, v48
	v_fmac_f32_e32 v12, 0xbf6c835e, v53
	v_fmac_f32_e32 v13, 0x3f6c835e, v37
	v_fmac_f32_e32 v5, 0x3ec3ef15, v47
	v_fma_f32 v18, v38, 2.0, -v10
	v_fma_f32 v37, v39, 2.0, -v15
	;; [unrolled: 1-line block ×16, first 2 shown]
	ds_write2_b64 v54, v[38:39], v[40:41] offset0:96 offset1:144
	ds_write2_b64 v54, v[36:37], v[42:43] offset1:48
	ds_write_b64 v56, v[18:19]
	ds_write2_b64 v31, v[44:45], v[20:21] offset0:112 offset1:160
	ds_write2_b64 v1, v[22:23], v[14:15] offset0:80 offset1:128
	;; [unrolled: 1-line block ×5, first 2 shown]
	ds_write_b64 v54, v[4:5] offset:5760
	s_waitcnt lgkmcnt(0)
	s_barrier
	buffer_gl0_inv
	ds_read_b64 v[2:3], v54
	v_lshlrev_b32_e32 v0, 3, v26
                                        ; implicit-def: $vgpr5
                                        ; implicit-def: $vgpr6
	v_sub_nc_u32_e32 v4, 0, v0
                                        ; implicit-def: $vgpr0
	v_cmpx_ne_u32_e32 0, v26
	s_xor_b32 s5, exec_lo, s5
	s_cbranch_execz .LBB0_19
; %bb.18:
	v_mov_b32_e32 v27, 0
	v_lshlrev_b64 v[0:1], 3, v[26:27]
	v_add_co_u32 v0, s0, s1, v0
	v_add_co_ci_u32_e64 v1, s0, s4, v1, s0
	global_load_dwordx2 v[7:8], v[0:1], off
	ds_read_b64 v[0:1], v4 offset:6144
	s_waitcnt lgkmcnt(0)
	v_sub_f32_e32 v5, v2, v0
	v_add_f32_e32 v6, v1, v3
	v_sub_f32_e32 v1, v3, v1
	v_add_f32_e32 v0, v0, v2
	v_mul_f32_e32 v3, 0.5, v5
	v_mul_f32_e32 v2, 0.5, v6
	;; [unrolled: 1-line block ×3, first 2 shown]
	s_waitcnt vmcnt(0)
	v_mul_f32_e32 v6, v8, v3
	v_fma_f32 v9, v2, v8, v1
	v_fma_f32 v1, v2, v8, -v1
	v_fma_f32 v5, 0.5, v0, v6
	v_fma_f32 v0, v0, 0.5, -v6
	v_fma_f32 v6, -v7, v3, v9
	v_fma_f32 v1, -v7, v3, v1
	v_fmac_f32_e32 v5, v7, v2
	v_fma_f32 v0, -v7, v2, v0
                                        ; implicit-def: $vgpr2_vgpr3
.LBB0_19:
	s_andn2_saveexec_b32 s0, s5
	s_cbranch_execz .LBB0_21
; %bb.20:
	v_mov_b32_e32 v6, 0
	s_waitcnt lgkmcnt(0)
	v_add_f32_e32 v5, v2, v3
	v_sub_f32_e32 v0, v2, v3
	ds_read_b32 v1, v6 offset:3076
	s_waitcnt lgkmcnt(0)
	v_xor_b32_e32 v2, 0x80000000, v1
	v_mov_b32_e32 v1, 0
	ds_write_b32 v6, v2 offset:3076
.LBB0_21:
	s_or_b32 exec_lo, exec_lo, s0
	v_mov_b32_e32 v31, 0
	s_waitcnt lgkmcnt(0)
	v_lshlrev_b64 v[2:3], 3, v[30:31]
	v_mov_b32_e32 v36, v31
	v_add_nc_u32_e32 v30, 0x120, v26
	v_lshlrev_b64 v[7:8], 3, v[35:36]
	v_add_co_u32 v2, s0, s1, v2
	v_add_co_ci_u32_e64 v3, s0, s4, v3, s0
	v_mov_b32_e32 v35, v31
	v_add_co_u32 v7, s0, s1, v7
	global_load_dwordx2 v[2:3], v[2:3], off
	v_add_co_ci_u32_e64 v8, s0, s4, v8, s0
	v_lshlrev_b64 v[9:10], 3, v[34:35]
	v_mov_b32_e32 v34, v31
	v_lshlrev_b64 v[15:16], 3, v[30:31]
	global_load_dwordx2 v[7:8], v[7:8], off
	v_add_nc_u32_e32 v30, 0x150, v26
	v_add_co_u32 v9, s0, s1, v9
	v_add_co_ci_u32_e64 v10, s0, s4, v10, s0
	v_lshlrev_b64 v[11:12], 3, v[33:34]
	v_mov_b32_e32 v33, v31
	v_lshlrev_b64 v[17:18], 3, v[30:31]
	global_load_dwordx2 v[9:10], v[9:10], off
	v_add_co_u32 v11, s0, s1, v11
	v_add_co_ci_u32_e64 v12, s0, s4, v12, s0
	v_lshlrev_b64 v[13:14], 3, v[32:33]
	global_load_dwordx2 v[11:12], v[11:12], off
	v_add_co_u32 v13, s0, s1, v13
	v_add_co_ci_u32_e64 v14, s0, s4, v14, s0
	v_add_co_u32 v15, s0, s1, v15
	v_add_co_ci_u32_e64 v16, s0, s4, v16, s0
	global_load_dwordx2 v[13:14], v[13:14], off
	v_add_co_u32 v17, s0, s1, v17
	global_load_dwordx2 v[15:16], v[15:16], off
	v_add_co_ci_u32_e64 v18, s0, s4, v18, s0
	ds_write2_b32 v54, v5, v6 offset1:1
	ds_write_b64 v4, v[0:1] offset:6144
	global_load_dwordx2 v[0:1], v[17:18], off
	ds_read_b64 v[5:6], v59
	ds_read_b64 v[17:18], v4 offset:5760
	s_waitcnt lgkmcnt(0)
	v_sub_f32_e32 v19, v5, v17
	v_add_f32_e32 v20, v6, v18
	v_sub_f32_e32 v6, v6, v18
	v_add_f32_e32 v5, v5, v17
	v_mul_f32_e32 v18, 0.5, v19
	v_mul_f32_e32 v19, 0.5, v20
	v_mul_f32_e32 v6, 0.5, v6
	s_waitcnt vmcnt(6)
	v_mul_f32_e32 v17, v3, v18
	v_fma_f32 v20, v19, v3, v6
	v_fma_f32 v3, v19, v3, -v6
	v_fma_f32 v6, 0.5, v5, v17
	v_fma_f32 v5, v5, 0.5, -v17
	v_fma_f32 v17, -v2, v18, v20
	v_fma_f32 v3, -v2, v18, v3
	v_fmac_f32_e32 v6, v2, v19
	v_fma_f32 v2, -v2, v19, v5
	ds_write2_b32 v59, v6, v17 offset1:1
	ds_write_b64 v4, v[2:3] offset:5760
	ds_read_b64 v[2:3], v58
	ds_read_b64 v[5:6], v4 offset:5376
	s_waitcnt lgkmcnt(0)
	v_sub_f32_e32 v17, v2, v5
	v_add_f32_e32 v18, v3, v6
	v_sub_f32_e32 v3, v3, v6
	v_add_f32_e32 v2, v2, v5
	v_mul_f32_e32 v6, 0.5, v17
	v_mul_f32_e32 v17, 0.5, v18
	v_mul_f32_e32 v3, 0.5, v3
	s_waitcnt vmcnt(5)
	v_mul_f32_e32 v5, v8, v6
	v_fma_f32 v18, v17, v8, v3
	v_fma_f32 v3, v17, v8, -v3
	v_fma_f32 v8, 0.5, v2, v5
	v_fma_f32 v2, v2, 0.5, -v5
	v_fma_f32 v5, -v7, v6, v18
	v_fma_f32 v3, -v7, v6, v3
	v_fmac_f32_e32 v8, v7, v17
	v_fma_f32 v2, -v7, v17, v2
	ds_write2_b32 v58, v8, v5 offset1:1
	ds_write_b64 v4, v[2:3] offset:5376
	;; [unrolled: 22-line block ×3, first 2 shown]
	ds_read_b64 v[2:3], v56
	ds_read_b64 v[5:6], v4 offset:4608
	v_add_nc_u32_e32 v10, 0x800, v54
	s_waitcnt lgkmcnt(0)
	v_sub_f32_e32 v7, v2, v5
	v_add_f32_e32 v8, v3, v6
	v_sub_f32_e32 v3, v3, v6
	v_add_f32_e32 v2, v2, v5
	v_mul_f32_e32 v6, 0.5, v7
	v_mul_f32_e32 v7, 0.5, v8
	;; [unrolled: 1-line block ×3, first 2 shown]
	s_waitcnt vmcnt(3)
	v_mul_f32_e32 v5, v12, v6
	v_fma_f32 v8, v7, v12, v3
	v_fma_f32 v3, v7, v12, -v3
	v_fma_f32 v9, 0.5, v2, v5
	v_fma_f32 v2, v2, 0.5, -v5
	v_fma_f32 v5, -v11, v6, v8
	v_fma_f32 v3, -v11, v6, v3
	v_fmac_f32_e32 v9, v11, v7
	v_fma_f32 v2, -v11, v7, v2
	ds_write2_b32 v56, v9, v5 offset1:1
	ds_write_b64 v4, v[2:3] offset:4608
	ds_read_b64 v[2:3], v55
	ds_read_b64 v[5:6], v4 offset:4224
	s_waitcnt lgkmcnt(0)
	v_sub_f32_e32 v7, v2, v5
	v_add_f32_e32 v8, v3, v6
	v_sub_f32_e32 v3, v3, v6
	v_add_f32_e32 v2, v2, v5
	v_mul_f32_e32 v6, 0.5, v7
	v_mul_f32_e32 v7, 0.5, v8
	;; [unrolled: 1-line block ×3, first 2 shown]
	s_waitcnt vmcnt(2)
	v_mul_f32_e32 v5, v14, v6
	v_fma_f32 v8, v7, v14, v3
	v_fma_f32 v3, v7, v14, -v3
	v_fma_f32 v9, 0.5, v2, v5
	v_fma_f32 v2, v2, 0.5, -v5
	v_fma_f32 v5, -v13, v6, v8
	v_fma_f32 v3, -v13, v6, v3
	v_fmac_f32_e32 v9, v13, v7
	v_fma_f32 v2, -v13, v7, v2
	ds_write2_b32 v55, v9, v5 offset1:1
	ds_write_b64 v4, v[2:3] offset:4224
	ds_read_b64 v[2:3], v54 offset:2304
	ds_read_b64 v[5:6], v4 offset:3840
	s_waitcnt lgkmcnt(0)
	v_sub_f32_e32 v7, v2, v5
	v_add_f32_e32 v8, v3, v6
	v_sub_f32_e32 v3, v3, v6
	v_add_f32_e32 v2, v2, v5
	v_mul_f32_e32 v6, 0.5, v7
	v_mul_f32_e32 v7, 0.5, v8
	;; [unrolled: 1-line block ×3, first 2 shown]
	s_waitcnt vmcnt(1)
	v_mul_f32_e32 v5, v16, v6
	v_fma_f32 v8, v7, v16, v3
	v_fma_f32 v3, v7, v16, -v3
	v_fma_f32 v9, 0.5, v2, v5
	v_fma_f32 v2, v2, 0.5, -v5
	v_fma_f32 v5, -v15, v6, v8
	v_fma_f32 v3, -v15, v6, v3
	v_fmac_f32_e32 v9, v15, v7
	v_fma_f32 v2, -v15, v7, v2
	ds_write2_b32 v10, v9, v5 offset0:64 offset1:65
	ds_write_b64 v4, v[2:3] offset:3840
	ds_read_b64 v[2:3], v54 offset:2688
	ds_read_b64 v[5:6], v4 offset:3456
	s_waitcnt lgkmcnt(0)
	v_sub_f32_e32 v7, v2, v5
	v_add_f32_e32 v8, v3, v6
	v_sub_f32_e32 v3, v3, v6
	v_add_f32_e32 v2, v2, v5
	v_mul_f32_e32 v6, 0.5, v7
	v_mul_f32_e32 v7, 0.5, v8
	v_mul_f32_e32 v3, 0.5, v3
	s_waitcnt vmcnt(0)
	v_mul_f32_e32 v5, v1, v6
	v_fma_f32 v8, v7, v1, v3
	v_fma_f32 v1, v7, v1, -v3
	v_fma_f32 v3, 0.5, v2, v5
	v_fma_f32 v2, v2, 0.5, -v5
	v_fma_f32 v5, -v0, v6, v8
	v_fma_f32 v1, -v0, v6, v1
	v_fmac_f32_e32 v3, v0, v7
	v_fma_f32 v0, -v0, v7, v2
	ds_write2_b32 v10, v3, v5 offset0:160 offset1:161
	ds_write_b64 v4, v[0:1] offset:3456
	s_waitcnt lgkmcnt(0)
	s_barrier
	buffer_gl0_inv
	s_and_saveexec_b32 s0, vcc_lo
	s_cbranch_execz .LBB0_24
; %bb.22:
	v_mul_lo_u32 v2, s3, v28
	v_mul_lo_u32 v3, s2, v29
	v_mad_u64_u32 v[0:1], null, s2, v28, 0
	v_lshl_add_u32 v18, v26, 3, 0
	v_mov_b32_e32 v27, v31
	v_lshlrev_b64 v[10:11], 3, v[24:25]
	v_add_nc_u32_e32 v30, 48, v26
	ds_read2_b64 v[6:9], v18 offset0:96 offset1:144
	v_add3_u32 v1, v1, v3, v2
	ds_read2_b64 v[2:5], v18 offset1:48
	v_lshlrev_b64 v[12:13], 3, v[26:27]
	v_lshlrev_b64 v[14:15], 3, v[30:31]
	v_add_nc_u32_e32 v30, 0x60, v26
	v_lshlrev_b64 v[0:1], 3, v[0:1]
	v_add_nc_u32_e32 v19, 0xc00, v18
	v_add_co_u32 v0, vcc_lo, s10, v0
	v_add_co_ci_u32_e32 v1, vcc_lo, s11, v1, vcc_lo
	v_add_co_u32 v0, vcc_lo, v0, v10
	v_add_co_ci_u32_e32 v1, vcc_lo, v1, v11, vcc_lo
	v_lshlrev_b64 v[10:11], 3, v[30:31]
	v_add_co_u32 v12, vcc_lo, v0, v12
	v_add_co_ci_u32_e32 v13, vcc_lo, v1, v13, vcc_lo
	v_add_co_u32 v14, vcc_lo, v0, v14
	v_add_co_ci_u32_e32 v15, vcc_lo, v1, v15, vcc_lo
	v_add_nc_u32_e32 v30, 0x90, v26
	v_add_co_u32 v10, vcc_lo, v0, v10
	v_add_co_ci_u32_e32 v11, vcc_lo, v1, v11, vcc_lo
	v_lshlrev_b64 v[16:17], 3, v[30:31]
	v_add_nc_u32_e32 v30, 0xc0, v26
	s_waitcnt lgkmcnt(0)
	global_store_dwordx2 v[12:13], v[2:3], off
	global_store_dwordx2 v[14:15], v[4:5], off
	;; [unrolled: 1-line block ×3, first 2 shown]
	ds_read2_b64 v[2:5], v18 offset0:192 offset1:240
	v_lshlrev_b64 v[6:7], 3, v[30:31]
	v_add_nc_u32_e32 v30, 0xf0, v26
	v_add_co_u32 v10, vcc_lo, v0, v16
	v_add_co_ci_u32_e32 v11, vcc_lo, v1, v17, vcc_lo
	v_lshlrev_b64 v[12:13], 3, v[30:31]
	v_add_co_u32 v6, vcc_lo, v0, v6
	v_add_co_ci_u32_e32 v7, vcc_lo, v1, v7, vcc_lo
	v_add_nc_u32_e32 v30, 0x120, v26
	v_add_co_u32 v12, vcc_lo, v0, v12
	v_add_nc_u32_e32 v16, 0x800, v18
	v_add_co_ci_u32_e32 v13, vcc_lo, v1, v13, vcc_lo
	v_lshlrev_b64 v[14:15], 3, v[30:31]
	v_add_nc_u32_e32 v30, 0x150, v26
	global_store_dwordx2 v[10:11], v[8:9], off
	s_waitcnt lgkmcnt(0)
	global_store_dwordx2 v[6:7], v[2:3], off
	global_store_dwordx2 v[12:13], v[4:5], off
	ds_read2_b64 v[2:5], v16 offset0:32 offset1:80
	ds_read2_b64 v[6:9], v16 offset0:128 offset1:176
	v_lshlrev_b64 v[10:11], 3, v[30:31]
	v_add_nc_u32_e32 v30, 0x180, v26
	v_add_co_u32 v12, vcc_lo, v0, v14
	v_add_co_ci_u32_e32 v13, vcc_lo, v1, v15, vcc_lo
	v_lshlrev_b64 v[14:15], 3, v[30:31]
	v_add_co_u32 v10, vcc_lo, v0, v10
	v_add_co_ci_u32_e32 v11, vcc_lo, v1, v11, vcc_lo
	v_add_nc_u32_e32 v30, 0x1b0, v26
	v_add_co_u32 v14, vcc_lo, v0, v14
	v_add_co_ci_u32_e32 v15, vcc_lo, v1, v15, vcc_lo
	v_lshlrev_b64 v[16:17], 3, v[30:31]
	v_add_nc_u32_e32 v30, 0x1e0, v26
	s_waitcnt lgkmcnt(1)
	global_store_dwordx2 v[12:13], v[2:3], off
	global_store_dwordx2 v[10:11], v[4:5], off
	s_waitcnt lgkmcnt(0)
	global_store_dwordx2 v[14:15], v[6:7], off
	ds_read2_b64 v[2:5], v19 offset0:96 offset1:144
	v_lshlrev_b64 v[6:7], 3, v[30:31]
	v_add_nc_u32_e32 v30, 0x210, v26
	v_add_co_u32 v10, vcc_lo, v0, v16
	v_add_co_ci_u32_e32 v11, vcc_lo, v1, v17, vcc_lo
	v_lshlrev_b64 v[12:13], 3, v[30:31]
	v_add_nc_u32_e32 v30, 0x240, v26
	v_add_co_u32 v6, vcc_lo, v0, v6
	v_add_co_ci_u32_e32 v7, vcc_lo, v1, v7, vcc_lo
	v_add_co_u32 v12, vcc_lo, v0, v12
	v_lshlrev_b64 v[14:15], 3, v[30:31]
	v_add_nc_u32_e32 v30, 0x270, v26
	v_add_co_ci_u32_e32 v13, vcc_lo, v1, v13, vcc_lo
	v_add_nc_u32_e32 v16, 0x1000, v18
	global_store_dwordx2 v[10:11], v[8:9], off
	s_waitcnt lgkmcnt(0)
	global_store_dwordx2 v[6:7], v[2:3], off
	global_store_dwordx2 v[12:13], v[4:5], off
	v_lshlrev_b64 v[10:11], 3, v[30:31]
	v_add_nc_u32_e32 v30, 0x2a0, v26
	v_add_co_u32 v12, vcc_lo, v0, v14
	ds_read2_b64 v[2:5], v16 offset0:64 offset1:112
	v_add_co_ci_u32_e32 v13, vcc_lo, v1, v15, vcc_lo
	v_lshlrev_b64 v[14:15], 3, v[30:31]
	v_add_nc_u32_e32 v30, 0x2d0, v26
	ds_read2_b64 v[6:9], v16 offset0:160 offset1:208
	v_add_co_u32 v10, vcc_lo, v0, v10
	v_add_co_ci_u32_e32 v11, vcc_lo, v1, v11, vcc_lo
	v_lshlrev_b64 v[16:17], 3, v[30:31]
	v_add_co_u32 v14, vcc_lo, v0, v14
	v_add_co_ci_u32_e32 v15, vcc_lo, v1, v15, vcc_lo
	v_add_co_u32 v16, vcc_lo, v0, v16
	v_add_co_ci_u32_e32 v17, vcc_lo, v1, v17, vcc_lo
	v_cmp_eq_u32_e32 vcc_lo, 47, v26
	s_waitcnt lgkmcnt(1)
	global_store_dwordx2 v[12:13], v[2:3], off
	global_store_dwordx2 v[10:11], v[4:5], off
	s_waitcnt lgkmcnt(0)
	global_store_dwordx2 v[14:15], v[6:7], off
	global_store_dwordx2 v[16:17], v[8:9], off
	s_and_b32 exec_lo, exec_lo, vcc_lo
	s_cbranch_execz .LBB0_24
; %bb.23:
	v_mov_b32_e32 v2, 0
	v_add_co_u32 v0, vcc_lo, 0x1800, v0
	v_add_co_ci_u32_e32 v1, vcc_lo, 0, v1, vcc_lo
	ds_read_b64 v[2:3], v2 offset:6144
	s_waitcnt lgkmcnt(0)
	global_store_dwordx2 v[0:1], v[2:3], off
.LBB0_24:
	s_endpgm
	.section	.rodata,"a",@progbits
	.p2align	6, 0x0
	.amdhsa_kernel fft_rtc_fwd_len768_factors_16_3_16_wgs_48_tpt_48_halfLds_sp_op_CI_CI_unitstride_sbrr_R2C_dirReg
		.amdhsa_group_segment_fixed_size 0
		.amdhsa_private_segment_fixed_size 0
		.amdhsa_kernarg_size 104
		.amdhsa_user_sgpr_count 6
		.amdhsa_user_sgpr_private_segment_buffer 1
		.amdhsa_user_sgpr_dispatch_ptr 0
		.amdhsa_user_sgpr_queue_ptr 0
		.amdhsa_user_sgpr_kernarg_segment_ptr 1
		.amdhsa_user_sgpr_dispatch_id 0
		.amdhsa_user_sgpr_flat_scratch_init 0
		.amdhsa_user_sgpr_private_segment_size 0
		.amdhsa_wavefront_size32 1
		.amdhsa_uses_dynamic_stack 0
		.amdhsa_system_sgpr_private_segment_wavefront_offset 0
		.amdhsa_system_sgpr_workgroup_id_x 1
		.amdhsa_system_sgpr_workgroup_id_y 0
		.amdhsa_system_sgpr_workgroup_id_z 0
		.amdhsa_system_sgpr_workgroup_info 0
		.amdhsa_system_vgpr_workitem_id 0
		.amdhsa_next_free_vgpr 91
		.amdhsa_next_free_sgpr 27
		.amdhsa_reserve_vcc 1
		.amdhsa_reserve_flat_scratch 0
		.amdhsa_float_round_mode_32 0
		.amdhsa_float_round_mode_16_64 0
		.amdhsa_float_denorm_mode_32 3
		.amdhsa_float_denorm_mode_16_64 3
		.amdhsa_dx10_clamp 1
		.amdhsa_ieee_mode 1
		.amdhsa_fp16_overflow 0
		.amdhsa_workgroup_processor_mode 1
		.amdhsa_memory_ordered 1
		.amdhsa_forward_progress 0
		.amdhsa_shared_vgpr_count 0
		.amdhsa_exception_fp_ieee_invalid_op 0
		.amdhsa_exception_fp_denorm_src 0
		.amdhsa_exception_fp_ieee_div_zero 0
		.amdhsa_exception_fp_ieee_overflow 0
		.amdhsa_exception_fp_ieee_underflow 0
		.amdhsa_exception_fp_ieee_inexact 0
		.amdhsa_exception_int_div_zero 0
	.end_amdhsa_kernel
	.text
.Lfunc_end0:
	.size	fft_rtc_fwd_len768_factors_16_3_16_wgs_48_tpt_48_halfLds_sp_op_CI_CI_unitstride_sbrr_R2C_dirReg, .Lfunc_end0-fft_rtc_fwd_len768_factors_16_3_16_wgs_48_tpt_48_halfLds_sp_op_CI_CI_unitstride_sbrr_R2C_dirReg
                                        ; -- End function
	.section	.AMDGPU.csdata,"",@progbits
; Kernel info:
; codeLenInByte = 8124
; NumSgprs: 29
; NumVgprs: 91
; ScratchSize: 0
; MemoryBound: 0
; FloatMode: 240
; IeeeMode: 1
; LDSByteSize: 0 bytes/workgroup (compile time only)
; SGPRBlocks: 3
; VGPRBlocks: 11
; NumSGPRsForWavesPerEU: 29
; NumVGPRsForWavesPerEU: 91
; Occupancy: 10
; WaveLimiterHint : 1
; COMPUTE_PGM_RSRC2:SCRATCH_EN: 0
; COMPUTE_PGM_RSRC2:USER_SGPR: 6
; COMPUTE_PGM_RSRC2:TRAP_HANDLER: 0
; COMPUTE_PGM_RSRC2:TGID_X_EN: 1
; COMPUTE_PGM_RSRC2:TGID_Y_EN: 0
; COMPUTE_PGM_RSRC2:TGID_Z_EN: 0
; COMPUTE_PGM_RSRC2:TIDIG_COMP_CNT: 0
	.text
	.p2alignl 6, 3214868480
	.fill 48, 4, 3214868480
	.type	__hip_cuid_396512407e9d6d7f,@object ; @__hip_cuid_396512407e9d6d7f
	.section	.bss,"aw",@nobits
	.globl	__hip_cuid_396512407e9d6d7f
__hip_cuid_396512407e9d6d7f:
	.byte	0                               ; 0x0
	.size	__hip_cuid_396512407e9d6d7f, 1

	.ident	"AMD clang version 19.0.0git (https://github.com/RadeonOpenCompute/llvm-project roc-6.4.0 25133 c7fe45cf4b819c5991fe208aaa96edf142730f1d)"
	.section	".note.GNU-stack","",@progbits
	.addrsig
	.addrsig_sym __hip_cuid_396512407e9d6d7f
	.amdgpu_metadata
---
amdhsa.kernels:
  - .args:
      - .actual_access:  read_only
        .address_space:  global
        .offset:         0
        .size:           8
        .value_kind:     global_buffer
      - .offset:         8
        .size:           8
        .value_kind:     by_value
      - .actual_access:  read_only
        .address_space:  global
        .offset:         16
        .size:           8
        .value_kind:     global_buffer
      - .actual_access:  read_only
        .address_space:  global
        .offset:         24
        .size:           8
        .value_kind:     global_buffer
      - .actual_access:  read_only
        .address_space:  global
        .offset:         32
        .size:           8
        .value_kind:     global_buffer
      - .offset:         40
        .size:           8
        .value_kind:     by_value
      - .actual_access:  read_only
        .address_space:  global
        .offset:         48
        .size:           8
        .value_kind:     global_buffer
      - .actual_access:  read_only
        .address_space:  global
        .offset:         56
        .size:           8
        .value_kind:     global_buffer
      - .offset:         64
        .size:           4
        .value_kind:     by_value
      - .actual_access:  read_only
        .address_space:  global
        .offset:         72
        .size:           8
        .value_kind:     global_buffer
      - .actual_access:  read_only
        .address_space:  global
        .offset:         80
        .size:           8
        .value_kind:     global_buffer
      - .actual_access:  read_only
        .address_space:  global
        .offset:         88
        .size:           8
        .value_kind:     global_buffer
      - .actual_access:  write_only
        .address_space:  global
        .offset:         96
        .size:           8
        .value_kind:     global_buffer
    .group_segment_fixed_size: 0
    .kernarg_segment_align: 8
    .kernarg_segment_size: 104
    .language:       OpenCL C
    .language_version:
      - 2
      - 0
    .max_flat_workgroup_size: 48
    .name:           fft_rtc_fwd_len768_factors_16_3_16_wgs_48_tpt_48_halfLds_sp_op_CI_CI_unitstride_sbrr_R2C_dirReg
    .private_segment_fixed_size: 0
    .sgpr_count:     29
    .sgpr_spill_count: 0
    .symbol:         fft_rtc_fwd_len768_factors_16_3_16_wgs_48_tpt_48_halfLds_sp_op_CI_CI_unitstride_sbrr_R2C_dirReg.kd
    .uniform_work_group_size: 1
    .uses_dynamic_stack: false
    .vgpr_count:     91
    .vgpr_spill_count: 0
    .wavefront_size: 32
    .workgroup_processor_mode: 1
amdhsa.target:   amdgcn-amd-amdhsa--gfx1030
amdhsa.version:
  - 1
  - 2
...

	.end_amdgpu_metadata
